;; amdgpu-corpus repo=ROCm/bitsandbytes kind=harvested arch=n/a opt=n/a
	.text
	.amdgcn_target "amdgcn-amd-amdhsa--gfx942"
	.amdhsa_code_object_version 6
	.protected	_Z20kDequantizeBlockwiseIfLi512ELi64ELi8ELi1EEvPfPhS0_PT_ii ; -- Begin function _Z20kDequantizeBlockwiseIfLi512ELi64ELi8ELi1EEvPfPhS0_PT_ii
	.globl	_Z20kDequantizeBlockwiseIfLi512ELi64ELi8ELi1EEvPfPhS0_PT_ii
	.p2align	8
	.type	_Z20kDequantizeBlockwiseIfLi512ELi64ELi8ELi1EEvPfPhS0_PT_ii,@function
_Z20kDequantizeBlockwiseIfLi512ELi64ELi8ELi1EEvPfPhS0_PT_ii: ; @_Z20kDequantizeBlockwiseIfLi512ELi64ELi8ELi1EEvPfPhS0_PT_ii
; %bb.0:
	s_load_dword s3, s[0:1], 0x28
	s_lshl_b32 s12, s2, 9
	s_waitcnt lgkmcnt(0)
	s_lshl_b32 s14, s3, 9
	s_cmp_ge_i32 s12, s14
	s_cbranch_scc1 .LBB156_51
; %bb.1:
	v_lshlrev_b32_e32 v8, 3, v0
	v_mbcnt_lo_u32_b32 v1, -1, 0
	v_mbcnt_hi_u32_b32 v2, -1, v1
	v_and_b32_e32 v6, 0x1e00, v8
	v_or_b32_e32 v9, v2, v6
	v_add_u32_e32 v10, 64, v9
	v_lshrrev_b32_e32 v1, 5, v6
	v_add_u32_e32 v17, v1, v9
	v_lshrrev_b32_e32 v1, 5, v10
	v_or_b32_e32 v11, 0x80, v9
	v_and_b32_e32 v1, 0xf4, v1
	v_add_u32_e32 v18, v1, v10
	v_lshrrev_b32_e32 v1, 5, v11
	v_add_u32_e32 v12, 0xc0, v9
	v_and_b32_e32 v1, 0xf4, v1
	v_add_u32_e32 v19, v1, v11
	v_lshrrev_b32_e32 v1, 5, v12
	v_or_b32_e32 v13, 0x100, v9
	v_and_b32_e32 v1, 0xfc, v1
	v_add_u32_e32 v20, v1, v12
	v_lshrrev_b32_e32 v1, 5, v13
	v_add_u32_e32 v14, 0x140, v9
	v_and_b32_e32 v1, 0xf8, v1
	v_add_u32_e32 v21, v1, v13
	v_lshrrev_b32_e32 v1, 5, v14
	v_or_b32_e32 v15, 0x180, v9
	v_and_b32_e32 v1, 0xfc, v1
	s_load_dwordx8 s[4:11], s[0:1], 0x8
	v_add_u32_e32 v22, v1, v14
	v_lshrrev_b32_e32 v1, 5, v15
	v_add_u32_e32 v16, 0x1c0, v9
	v_and_b32_e32 v1, 0xfc, v1
	v_add_u32_e32 v23, v1, v15
	v_lshrrev_b32_e32 v1, 5, v16
	v_and_b32_e32 v1, 0x1fc, v1
	v_mov_b32_e32 v3, 0
	v_add_u32_e32 v24, v1, v16
	v_and_b32_e32 v1, 0x3c0, v0
	s_waitcnt lgkmcnt(0)
	v_lshl_add_u64 v[4:5], s[4:5], 0, v[2:3]
	v_mov_b32_e32 v7, v3
	v_add_u32_e32 v1, v2, v1
	v_lshl_add_u64 v[4:5], v[4:5], 0, v[6:7]
	v_lshrrev_b32_e32 v6, 2, v1
	v_and_b32_e32 v6, 0x1fc, v6
	v_lshl_add_u32 v25, v1, 3, v6
	v_lshlrev_b32_e32 v0, 4, v0
	v_lshlrev_b32_e32 v6, 4, v1
	v_bfe_u32 v1, v1, 1, 27
	v_add_lshl_u32 v26, v1, v6, 2
	v_and_b32_e32 v6, 0x3c00, v0
	v_or_b32_e32 v27, v2, v6
	v_lshrrev_b32_e32 v0, 5, v27
	v_add_u32_e32 v29, 64, v27
	v_add_lshl_u32 v28, v0, v27, 2
	v_lshrrev_b32_e32 v0, 5, v29
	v_or_b32_e32 v31, 0x80, v27
	v_add_lshl_u32 v30, v0, v29, 2
	v_lshrrev_b32_e32 v0, 5, v31
	v_add_u32_e32 v33, 0xc0, v27
	v_add_lshl_u32 v32, v0, v31, 2
	v_lshrrev_b32_e32 v0, 5, v33
	v_or_b32_e32 v35, 0x100, v27
	v_add_lshl_u32 v34, v0, v33, 2
	;; [unrolled: 6-line block ×5, first 2 shown]
	v_lshrrev_b32_e32 v0, 5, v47
	v_add_u32_e32 v49, 0x2c0, v27
	v_add_lshl_u32 v48, v0, v47, 2
	v_lshrrev_b32_e32 v0, 5, v49
	v_or_b32_e32 v51, 0x300, v27
	s_add_i32 s0, s11, 1
	v_add_lshl_u32 v50, v0, v49, 2
	v_lshrrev_b32_e32 v0, 5, v51
	v_add_u32_e32 v53, 0x340, v27
	s_flbit_i32_b32 s1, s10
	s_lshr_b32 s10, s0, 31
	v_add_lshl_u32 v52, v0, v51, 2
	v_lshrrev_b32_e32 v0, 5, v53
	v_or_b32_e32 v55, 0x380, v27
	s_add_i32 s0, s0, s10
	v_add_lshl_u32 v54, v0, v53, 2
	v_lshrrev_b32_e32 v0, 5, v55
	v_add_u32_e32 v57, 0x3c0, v27
	s_ashr_i32 s0, s0, 1
	v_add_lshl_u32 v56, v0, v55, 2
	v_lshrrev_b32_e32 v0, 5, v57
	v_lshlrev_b32_e32 v2, 2, v2
	s_min_u32 s1, s1, 32
	v_add_lshl_u32 v58, v0, v57, 2
	v_lshl_add_u64 v[0:1], s[8:9], 0, v[2:3]
	v_lshlrev_b32_e32 v2, 2, v6
	s_sub_i32 s4, s0, s12
	s_lshl_b32 s0, s2, 10
	s_sub_i32 s10, 31, s1
	v_lshl_add_u64 v[0:1], v[0:1], 0, v[2:3]
	s_sub_i32 s5, s11, s0
	s_lshl_b32 s8, s3, 10
	v_mov_b32_e32 v59, 2
	v_mov_b32_e32 v60, 7
	s_branch .LBB156_3
.LBB156_2:                              ;   in Loop: Header=BB156_3 Depth=1
	s_or_b64 exec, exec, s[2:3]
	s_add_i32 s12, s12, s14
	s_sub_i32 s4, s4, s14
	s_sub_i32 s5, s5, s8
	s_add_i32 s0, s0, s8
	s_cmp_ge_i32 s12, s14
	s_cbranch_scc1 .LBB156_51
.LBB156_3:                              ; =>This Inner Loop Header: Depth=1
	s_waitcnt lgkmcnt(0)
	v_add_u32_e32 v2, s12, v8
	v_lshrrev_b32_e32 v2, s10, v2
	v_lshl_add_u64 v[6:7], v[2:3], 2, s[6:7]
	global_load_dword v2, v[6:7], off
	s_min_i32 s1, s4, 0x200
	s_ashr_i32 s13, s12, 31
	v_lshl_add_u64 v[6:7], v[4:5], 0, s[12:13]
	v_cmp_gt_u32_e32 vcc, s1, v9
	v_mov_b32_e32 v61, 0x80
	v_mov_b32_e32 v62, 0x80
	;; [unrolled: 1-line block ×7, first 2 shown]
	s_barrier
	s_and_saveexec_b64 s[2:3], vcc
	s_cbranch_execz .LBB156_5
; %bb.4:                                ;   in Loop: Header=BB156_3 Depth=1
	global_load_ubyte v62, v[6:7], off
	v_mov_b32_e32 v61, 0x80
	v_mov_b32_e32 v63, 0x80
	;; [unrolled: 1-line block ×6, first 2 shown]
.LBB156_5:                              ;   in Loop: Header=BB156_3 Depth=1
	s_or_b64 exec, exec, s[2:3]
	v_cmp_gt_u32_e32 vcc, s1, v10
	v_mov_b32_e32 v68, v61
	s_and_saveexec_b64 s[2:3], vcc
	s_cbranch_execnz .LBB156_29
; %bb.6:                                ;   in Loop: Header=BB156_3 Depth=1
	s_or_b64 exec, exec, s[2:3]
	v_cmp_gt_u32_e32 vcc, s1, v11
	s_and_saveexec_b64 s[2:3], vcc
	s_cbranch_execnz .LBB156_30
.LBB156_7:                              ;   in Loop: Header=BB156_3 Depth=1
	s_or_b64 exec, exec, s[2:3]
	v_cmp_gt_u32_e32 vcc, s1, v12
	s_and_saveexec_b64 s[2:3], vcc
	s_cbranch_execnz .LBB156_31
.LBB156_8:                              ;   in Loop: Header=BB156_3 Depth=1
	s_or_b64 exec, exec, s[2:3]
	v_cmp_gt_u32_e32 vcc, s1, v13
	s_and_saveexec_b64 s[2:3], vcc
	s_cbranch_execnz .LBB156_32
.LBB156_9:                              ;   in Loop: Header=BB156_3 Depth=1
	s_or_b64 exec, exec, s[2:3]
	v_cmp_gt_u32_e32 vcc, s1, v14
	s_and_saveexec_b64 s[2:3], vcc
	s_cbranch_execnz .LBB156_33
.LBB156_10:                             ;   in Loop: Header=BB156_3 Depth=1
	s_or_b64 exec, exec, s[2:3]
	v_cmp_gt_u32_e32 vcc, s1, v15
	s_and_saveexec_b64 s[2:3], vcc
	s_cbranch_execnz .LBB156_34
.LBB156_11:                             ;   in Loop: Header=BB156_3 Depth=1
	s_or_b64 exec, exec, s[2:3]
	v_cmp_gt_u32_e32 vcc, s1, v16
	s_and_saveexec_b64 s[2:3], vcc
	s_cbranch_execz .LBB156_13
.LBB156_12:                             ;   in Loop: Header=BB156_3 Depth=1
	global_load_ubyte v67, v[6:7], off offset:448
.LBB156_13:                             ;   in Loop: Header=BB156_3 Depth=1
	s_or_b64 exec, exec, s[2:3]
	s_waitcnt vmcnt(0)
	ds_write_b8 v17, v62 offset:4224
	ds_write_b8 v18, v68 offset:4224
	;; [unrolled: 1-line block ×8, first 2 shown]
	; wave barrier
	ds_read_b64 v[6:7], v25 offset:4224
	s_min_i32 s9, s5, 0x400
	s_getpc_b64 s[2:3]
	s_add_u32 s2, s2, _ZL22fp4_dequantization_lut@rel32@lo+4
	s_addc_u32 s3, s3, _ZL22fp4_dequantization_lut@rel32@hi+12
	s_ashr_i32 s1, s0, 31
	v_cmp_gt_u32_e32 vcc, s9, v27
	s_waitcnt lgkmcnt(0)
	v_lshrrev_b16_e32 v61, 4, v6
	v_and_b32_e32 v61, 15, v61
	v_lshrrev_b32_sdwa v62, v59, v61 dst_sel:DWORD dst_unused:UNUSED_PAD src0_sel:DWORD src1_sel:WORD_0
	v_and_b32_sdwa v61, v61, v60 dst_sel:DWORD dst_unused:UNUSED_PAD src0_sel:WORD_0 src1_sel:DWORD
	v_lshlrev_b32_e32 v61, 2, v61
	global_load_dword v61, v61, s[2:3]
	v_and_b32_e32 v63, 7, v6
	v_lshlrev_b32_e32 v63, 2, v63
	global_load_dword v63, v63, s[2:3]
	v_lshrrev_b32_e32 v64, 10, v6
	v_and_b32_e32 v65, 28, v64
	global_load_dword v65, v65, s[2:3]
	v_and_b32_e32 v62, 2, v62
	v_cvt_f32_ubyte0_e32 v62, v62
	v_lshrrev_b32_e32 v68, 18, v6
	v_sub_f32_e32 v62, 1.0, v62
	v_and_b32_e32 v69, 28, v68
	global_load_dword v69, v69, s[2:3]
	v_lshrrev_b32_e32 v66, 14, v6
	v_and_b32_e32 v64, 2, v64
	v_cvt_f32_ubyte0_e32 v64, v64
	v_and_b32_e32 v70, 7, v7
	v_sub_f32_e32 v64, 1.0, v64
	v_lshrrev_b32_e32 v67, 22, v6
	v_lshlrev_b32_e32 v70, 2, v70
	v_and_b32_e32 v68, 2, v68
	v_cvt_f32_ubyte0_e32 v68, v68
	v_sub_f32_e32 v68, 1.0, v68
	v_lshrrev_b32_e32 v71, 10, v7
	v_and_b32_e32 v72, 28, v71
	v_lshrrev_b32_e32 v74, 18, v7
	v_and_b32_e32 v76, 28, v74
	;; [unrolled: 2-line block ×3, first 2 shown]
	v_cvt_f32_ubyte0_e32 v71, v71
	v_sub_f32_e32 v71, 1.0, v71
	v_lshrrev_b32_e32 v75, 22, v7
	v_and_b32_e32 v74, 2, v74
	v_cvt_f32_ubyte0_e32 v74, v74
	v_sub_f32_e32 v74, 1.0, v74
	global_load_dword v70, v70, s[2:3]
	s_waitcnt vmcnt(4)
	v_mul_f32_e32 v61, v62, v61
	v_lshrrev_b32_e32 v62, 2, v6
	v_and_b32_e32 v62, 2, v62
	v_cvt_f32_ubyte0_e32 v62, v62
	v_sub_f32_e32 v62, 1.0, v62
	s_waitcnt vmcnt(3)
	v_mul_f32_e32 v62, v62, v63
	v_and_b32_e32 v63, 2, v66
	v_cvt_f32_ubyte0_e32 v63, v63
	v_sub_f32_e32 v63, 1.0, v63
	s_waitcnt vmcnt(2)
	v_mul_f32_e32 v63, v63, v65
	v_lshrrev_b32_e32 v65, 6, v6
	v_and_b32_e32 v65, 28, v65
	global_load_dword v65, v65, s[2:3]
	v_and_b32_e32 v66, 28, v66
	global_load_dword v66, v66, s[2:3]
	v_mul_f32_e32 v61, v2, v61
	v_mul_f32_e32 v62, v2, v62
	;; [unrolled: 1-line block ×3, first 2 shown]
	global_load_dword v72, v72, s[2:3]
	s_waitcnt vmcnt(2)
	v_mul_f32_e32 v64, v64, v65
	v_and_b32_e32 v65, 2, v67
	v_cvt_f32_ubyte0_e32 v65, v65
	v_sub_f32_e32 v65, 1.0, v65
	v_mul_f32_e32 v65, v65, v69
	v_lshrrev_b32_e32 v69, 26, v6
	s_waitcnt vmcnt(1)
	v_mul_f32_e32 v66, v68, v66
	v_lshrrev_b32_e32 v68, 30, v6
	v_and_b32_e32 v6, 28, v69
	global_load_dword v6, v6, s[2:3]
	v_and_b32_e32 v67, 28, v67
	global_load_dword v67, v67, s[2:3]
	v_and_b32_e32 v68, 2, v68
	v_cvt_f32_ubyte0_e32 v68, v68
	v_sub_f32_e32 v68, 1.0, v68
	v_mul_f32_e32 v64, v2, v64
	v_mul_f32_e32 v65, v2, v65
	;; [unrolled: 1-line block ×3, first 2 shown]
	global_load_dword v76, v76, s[2:3]
	s_waitcnt vmcnt(2)
	v_mul_f32_e32 v6, v68, v6
	v_and_b32_e32 v68, 2, v69
	v_cvt_f32_ubyte0_e32 v68, v68
	v_sub_f32_e32 v68, 1.0, v68
	s_waitcnt vmcnt(1)
	v_mul_f32_e32 v67, v68, v67
	v_lshrrev_b16_e32 v68, 4, v7
	v_and_b32_e32 v68, 15, v68
	v_lshrrev_b32_sdwa v69, v59, v68 dst_sel:DWORD dst_unused:UNUSED_PAD src0_sel:DWORD src1_sel:WORD_0
	v_and_b32_sdwa v68, v68, v60 dst_sel:DWORD dst_unused:UNUSED_PAD src0_sel:WORD_0 src1_sel:DWORD
	v_lshlrev_b32_e32 v68, 2, v68
	global_load_dword v68, v68, s[2:3]
	v_and_b32_e32 v69, 2, v69
	v_cvt_f32_ubyte0_e32 v69, v69
	v_sub_f32_e32 v69, 1.0, v69
	v_mul_f32_e32 v6, v2, v6
	v_mul_f32_e32 v67, v2, v67
	s_waitcnt vmcnt(0)
	v_mul_f32_e32 v68, v69, v68
	v_lshrrev_b32_e32 v69, 2, v7
	v_and_b32_e32 v69, 2, v69
	v_cvt_f32_ubyte0_e32 v69, v69
	v_sub_f32_e32 v69, 1.0, v69
	v_mul_f32_e32 v69, v69, v70
	v_and_b32_e32 v70, 2, v73
	v_cvt_f32_ubyte0_e32 v70, v70
	v_sub_f32_e32 v70, 1.0, v70
	v_mul_f32_e32 v70, v70, v72
	v_lshrrev_b32_e32 v72, 6, v7
	v_and_b32_e32 v72, 28, v72
	global_load_dword v72, v72, s[2:3]
	v_and_b32_e32 v73, 28, v73
	global_load_dword v73, v73, s[2:3]
	v_mul_f32_e32 v68, v2, v68
	v_mul_f32_e32 v69, v2, v69
	;; [unrolled: 1-line block ×3, first 2 shown]
	s_waitcnt vmcnt(1)
	v_mul_f32_e32 v71, v71, v72
	v_and_b32_e32 v72, 2, v75
	v_cvt_f32_ubyte0_e32 v72, v72
	v_sub_f32_e32 v72, 1.0, v72
	v_mul_f32_e32 v72, v72, v76
	v_lshrrev_b32_e32 v76, 26, v7
	s_waitcnt vmcnt(0)
	v_mul_f32_e32 v73, v74, v73
	v_lshrrev_b32_e32 v74, 30, v7
	v_and_b32_e32 v7, 28, v76
	global_load_dword v7, v7, s[2:3]
	v_and_b32_e32 v75, 28, v75
	global_load_dword v75, v75, s[2:3]
	v_and_b32_e32 v74, 2, v74
	v_cvt_f32_ubyte0_e32 v74, v74
	v_sub_f32_e32 v74, 1.0, v74
	v_mul_f32_e32 v71, v2, v71
	v_mul_f32_e32 v72, v2, v72
	;; [unrolled: 1-line block ×3, first 2 shown]
	s_barrier
	s_waitcnt vmcnt(1)
	v_mul_f32_e32 v7, v74, v7
	v_and_b32_e32 v74, 2, v76
	v_cvt_f32_ubyte0_e32 v74, v74
	v_sub_f32_e32 v74, 1.0, v74
	s_waitcnt vmcnt(0)
	v_mul_f32_e32 v74, v74, v75
	v_mul_f32_e32 v7, v2, v7
	;; [unrolled: 1-line block ×3, first 2 shown]
	ds_write2_b32 v26, v61, v62 offset1:1
	ds_write2_b32 v26, v63, v64 offset0:2 offset1:3
	ds_write2_b32 v26, v65, v66 offset0:4 offset1:5
	;; [unrolled: 1-line block ×7, first 2 shown]
	; wave barrier
	ds_read_b32 v74, v30
	ds_read_b32 v73, v32
	;; [unrolled: 1-line block ×15, first 2 shown]
	v_lshl_add_u64 v[6:7], s[0:1], 2, v[0:1]
	s_and_saveexec_b64 s[2:3], vcc
	s_cbranch_execnz .LBB156_35
; %bb.14:                               ;   in Loop: Header=BB156_3 Depth=1
	s_or_b64 exec, exec, s[2:3]
	v_cmp_gt_u32_e32 vcc, s9, v29
	s_and_saveexec_b64 s[2:3], vcc
	s_cbranch_execnz .LBB156_36
.LBB156_15:                             ;   in Loop: Header=BB156_3 Depth=1
	s_or_b64 exec, exec, s[2:3]
	v_cmp_gt_u32_e32 vcc, s9, v31
	s_and_saveexec_b64 s[2:3], vcc
	s_cbranch_execnz .LBB156_37
.LBB156_16:                             ;   in Loop: Header=BB156_3 Depth=1
	s_or_b64 exec, exec, s[2:3]
	v_cmp_gt_u32_e32 vcc, s9, v33
	s_and_saveexec_b64 s[2:3], vcc
	s_cbranch_execnz .LBB156_38
.LBB156_17:                             ;   in Loop: Header=BB156_3 Depth=1
	s_or_b64 exec, exec, s[2:3]
	v_cmp_gt_u32_e32 vcc, s9, v35
	s_and_saveexec_b64 s[2:3], vcc
	s_cbranch_execnz .LBB156_39
.LBB156_18:                             ;   in Loop: Header=BB156_3 Depth=1
	s_or_b64 exec, exec, s[2:3]
	v_cmp_gt_u32_e32 vcc, s9, v37
	s_and_saveexec_b64 s[2:3], vcc
	s_cbranch_execnz .LBB156_40
.LBB156_19:                             ;   in Loop: Header=BB156_3 Depth=1
	s_or_b64 exec, exec, s[2:3]
	v_cmp_gt_u32_e32 vcc, s9, v39
	s_and_saveexec_b64 s[2:3], vcc
	s_cbranch_execnz .LBB156_41
.LBB156_20:                             ;   in Loop: Header=BB156_3 Depth=1
	s_or_b64 exec, exec, s[2:3]
	v_cmp_gt_u32_e32 vcc, s9, v41
	s_and_saveexec_b64 s[2:3], vcc
	s_cbranch_execnz .LBB156_42
.LBB156_21:                             ;   in Loop: Header=BB156_3 Depth=1
	s_or_b64 exec, exec, s[2:3]
	v_cmp_gt_u32_e32 vcc, s9, v43
	s_and_saveexec_b64 s[2:3], vcc
	s_cbranch_execnz .LBB156_43
.LBB156_22:                             ;   in Loop: Header=BB156_3 Depth=1
	s_or_b64 exec, exec, s[2:3]
	v_cmp_gt_u32_e32 vcc, s9, v45
	s_and_saveexec_b64 s[2:3], vcc
	s_cbranch_execnz .LBB156_44
.LBB156_23:                             ;   in Loop: Header=BB156_3 Depth=1
	s_or_b64 exec, exec, s[2:3]
	v_cmp_gt_u32_e32 vcc, s9, v47
	s_and_saveexec_b64 s[2:3], vcc
	s_cbranch_execnz .LBB156_45
.LBB156_24:                             ;   in Loop: Header=BB156_3 Depth=1
	s_or_b64 exec, exec, s[2:3]
	v_cmp_gt_u32_e32 vcc, s9, v49
	s_and_saveexec_b64 s[2:3], vcc
	s_cbranch_execnz .LBB156_46
.LBB156_25:                             ;   in Loop: Header=BB156_3 Depth=1
	s_or_b64 exec, exec, s[2:3]
	v_cmp_gt_u32_e32 vcc, s9, v51
	s_and_saveexec_b64 s[2:3], vcc
	s_cbranch_execnz .LBB156_47
.LBB156_26:                             ;   in Loop: Header=BB156_3 Depth=1
	s_or_b64 exec, exec, s[2:3]
	v_cmp_gt_u32_e32 vcc, s9, v53
	s_and_saveexec_b64 s[2:3], vcc
	s_cbranch_execnz .LBB156_48
.LBB156_27:                             ;   in Loop: Header=BB156_3 Depth=1
	s_or_b64 exec, exec, s[2:3]
	v_cmp_gt_u32_e32 vcc, s9, v55
	s_and_saveexec_b64 s[2:3], vcc
	s_cbranch_execnz .LBB156_49
.LBB156_28:                             ;   in Loop: Header=BB156_3 Depth=1
	s_or_b64 exec, exec, s[2:3]
	v_cmp_gt_u32_e32 vcc, s9, v57
	s_and_saveexec_b64 s[2:3], vcc
	s_cbranch_execz .LBB156_2
	s_branch .LBB156_50
.LBB156_29:                             ;   in Loop: Header=BB156_3 Depth=1
	global_load_ubyte v68, v[6:7], off offset:64
	s_or_b64 exec, exec, s[2:3]
	v_cmp_gt_u32_e32 vcc, s1, v11
	s_and_saveexec_b64 s[2:3], vcc
	s_cbranch_execz .LBB156_7
.LBB156_30:                             ;   in Loop: Header=BB156_3 Depth=1
	global_load_ubyte v61, v[6:7], off offset:128
	s_or_b64 exec, exec, s[2:3]
	v_cmp_gt_u32_e32 vcc, s1, v12
	s_and_saveexec_b64 s[2:3], vcc
	s_cbranch_execz .LBB156_8
.LBB156_31:                             ;   in Loop: Header=BB156_3 Depth=1
	global_load_ubyte v63, v[6:7], off offset:192
	s_or_b64 exec, exec, s[2:3]
	v_cmp_gt_u32_e32 vcc, s1, v13
	s_and_saveexec_b64 s[2:3], vcc
	s_cbranch_execz .LBB156_9
.LBB156_32:                             ;   in Loop: Header=BB156_3 Depth=1
	global_load_ubyte v64, v[6:7], off offset:256
	s_or_b64 exec, exec, s[2:3]
	v_cmp_gt_u32_e32 vcc, s1, v14
	s_and_saveexec_b64 s[2:3], vcc
	s_cbranch_execz .LBB156_10
.LBB156_33:                             ;   in Loop: Header=BB156_3 Depth=1
	global_load_ubyte v65, v[6:7], off offset:320
	s_or_b64 exec, exec, s[2:3]
	v_cmp_gt_u32_e32 vcc, s1, v15
	s_and_saveexec_b64 s[2:3], vcc
	s_cbranch_execz .LBB156_11
.LBB156_34:                             ;   in Loop: Header=BB156_3 Depth=1
	global_load_ubyte v66, v[6:7], off offset:384
	s_or_b64 exec, exec, s[2:3]
	v_cmp_gt_u32_e32 vcc, s1, v16
	s_and_saveexec_b64 s[2:3], vcc
	s_cbranch_execnz .LBB156_12
	s_branch .LBB156_13
.LBB156_35:                             ;   in Loop: Header=BB156_3 Depth=1
	ds_read_b32 v75, v28
	s_waitcnt lgkmcnt(0)
	global_store_dword v[6:7], v75, off
	s_or_b64 exec, exec, s[2:3]
	v_cmp_gt_u32_e32 vcc, s9, v29
	s_and_saveexec_b64 s[2:3], vcc
	s_cbranch_execz .LBB156_15
.LBB156_36:                             ;   in Loop: Header=BB156_3 Depth=1
	s_waitcnt lgkmcnt(14)
	global_store_dword v[6:7], v74, off offset:256
	s_or_b64 exec, exec, s[2:3]
	v_cmp_gt_u32_e32 vcc, s9, v31
	s_and_saveexec_b64 s[2:3], vcc
	s_cbranch_execz .LBB156_16
.LBB156_37:                             ;   in Loop: Header=BB156_3 Depth=1
	s_waitcnt lgkmcnt(13)
	global_store_dword v[6:7], v73, off offset:512
	s_or_b64 exec, exec, s[2:3]
	v_cmp_gt_u32_e32 vcc, s9, v33
	s_and_saveexec_b64 s[2:3], vcc
	s_cbranch_execz .LBB156_17
.LBB156_38:                             ;   in Loop: Header=BB156_3 Depth=1
	s_waitcnt lgkmcnt(12)
	global_store_dword v[6:7], v72, off offset:768
	s_or_b64 exec, exec, s[2:3]
	v_cmp_gt_u32_e32 vcc, s9, v35
	s_and_saveexec_b64 s[2:3], vcc
	s_cbranch_execz .LBB156_18
.LBB156_39:                             ;   in Loop: Header=BB156_3 Depth=1
	s_waitcnt lgkmcnt(11)
	global_store_dword v[6:7], v71, off offset:1024
	s_or_b64 exec, exec, s[2:3]
	v_cmp_gt_u32_e32 vcc, s9, v37
	s_and_saveexec_b64 s[2:3], vcc
	s_cbranch_execz .LBB156_19
.LBB156_40:                             ;   in Loop: Header=BB156_3 Depth=1
	s_waitcnt lgkmcnt(10)
	global_store_dword v[6:7], v70, off offset:1280
	s_or_b64 exec, exec, s[2:3]
	v_cmp_gt_u32_e32 vcc, s9, v39
	s_and_saveexec_b64 s[2:3], vcc
	s_cbranch_execz .LBB156_20
.LBB156_41:                             ;   in Loop: Header=BB156_3 Depth=1
	s_waitcnt lgkmcnt(9)
	global_store_dword v[6:7], v69, off offset:1536
	s_or_b64 exec, exec, s[2:3]
	v_cmp_gt_u32_e32 vcc, s9, v41
	s_and_saveexec_b64 s[2:3], vcc
	s_cbranch_execz .LBB156_21
.LBB156_42:                             ;   in Loop: Header=BB156_3 Depth=1
	s_waitcnt lgkmcnt(8)
	global_store_dword v[6:7], v68, off offset:1792
	s_or_b64 exec, exec, s[2:3]
	v_cmp_gt_u32_e32 vcc, s9, v43
	s_and_saveexec_b64 s[2:3], vcc
	s_cbranch_execz .LBB156_22
.LBB156_43:                             ;   in Loop: Header=BB156_3 Depth=1
	s_waitcnt lgkmcnt(7)
	global_store_dword v[6:7], v67, off offset:2048
	s_or_b64 exec, exec, s[2:3]
	v_cmp_gt_u32_e32 vcc, s9, v45
	s_and_saveexec_b64 s[2:3], vcc
	s_cbranch_execz .LBB156_23
.LBB156_44:                             ;   in Loop: Header=BB156_3 Depth=1
	s_waitcnt lgkmcnt(6)
	global_store_dword v[6:7], v66, off offset:2304
	s_or_b64 exec, exec, s[2:3]
	v_cmp_gt_u32_e32 vcc, s9, v47
	s_and_saveexec_b64 s[2:3], vcc
	s_cbranch_execz .LBB156_24
.LBB156_45:                             ;   in Loop: Header=BB156_3 Depth=1
	s_waitcnt lgkmcnt(5)
	global_store_dword v[6:7], v65, off offset:2560
	s_or_b64 exec, exec, s[2:3]
	v_cmp_gt_u32_e32 vcc, s9, v49
	s_and_saveexec_b64 s[2:3], vcc
	s_cbranch_execz .LBB156_25
.LBB156_46:                             ;   in Loop: Header=BB156_3 Depth=1
	s_waitcnt lgkmcnt(4)
	global_store_dword v[6:7], v64, off offset:2816
	s_or_b64 exec, exec, s[2:3]
	v_cmp_gt_u32_e32 vcc, s9, v51
	s_and_saveexec_b64 s[2:3], vcc
	s_cbranch_execz .LBB156_26
.LBB156_47:                             ;   in Loop: Header=BB156_3 Depth=1
	s_waitcnt lgkmcnt(3)
	global_store_dword v[6:7], v63, off offset:3072
	s_or_b64 exec, exec, s[2:3]
	v_cmp_gt_u32_e32 vcc, s9, v53
	s_and_saveexec_b64 s[2:3], vcc
	s_cbranch_execz .LBB156_27
.LBB156_48:                             ;   in Loop: Header=BB156_3 Depth=1
	s_waitcnt lgkmcnt(2)
	global_store_dword v[6:7], v62, off offset:3328
	s_or_b64 exec, exec, s[2:3]
	v_cmp_gt_u32_e32 vcc, s9, v55
	s_and_saveexec_b64 s[2:3], vcc
	s_cbranch_execz .LBB156_28
.LBB156_49:                             ;   in Loop: Header=BB156_3 Depth=1
	s_waitcnt lgkmcnt(1)
	global_store_dword v[6:7], v61, off offset:3584
	s_or_b64 exec, exec, s[2:3]
	v_cmp_gt_u32_e32 vcc, s9, v57
	s_and_saveexec_b64 s[2:3], vcc
	s_cbranch_execz .LBB156_2
.LBB156_50:                             ;   in Loop: Header=BB156_3 Depth=1
	s_waitcnt lgkmcnt(0)
	global_store_dword v[6:7], v2, off offset:3840
	s_branch .LBB156_2
.LBB156_51:
	s_endpgm
	.section	.rodata,"a",@progbits
	.p2align	6, 0x0
	.amdhsa_kernel _Z20kDequantizeBlockwiseIfLi512ELi64ELi8ELi1EEvPfPhS0_PT_ii
		.amdhsa_group_segment_fixed_size 4752
		.amdhsa_private_segment_fixed_size 0
		.amdhsa_kernarg_size 296
		.amdhsa_user_sgpr_count 2
		.amdhsa_user_sgpr_dispatch_ptr 0
		.amdhsa_user_sgpr_queue_ptr 0
		.amdhsa_user_sgpr_kernarg_segment_ptr 1
		.amdhsa_user_sgpr_dispatch_id 0
		.amdhsa_user_sgpr_kernarg_preload_length 0
		.amdhsa_user_sgpr_kernarg_preload_offset 0
		.amdhsa_user_sgpr_private_segment_size 0
		.amdhsa_uses_dynamic_stack 0
		.amdhsa_enable_private_segment 0
		.amdhsa_system_sgpr_workgroup_id_x 1
		.amdhsa_system_sgpr_workgroup_id_y 0
		.amdhsa_system_sgpr_workgroup_id_z 0
		.amdhsa_system_sgpr_workgroup_info 0
		.amdhsa_system_vgpr_workitem_id 0
		.amdhsa_next_free_vgpr 77
		.amdhsa_next_free_sgpr 15
		.amdhsa_accum_offset 80
		.amdhsa_reserve_vcc 1
		.amdhsa_float_round_mode_32 0
		.amdhsa_float_round_mode_16_64 0
		.amdhsa_float_denorm_mode_32 3
		.amdhsa_float_denorm_mode_16_64 3
		.amdhsa_dx10_clamp 1
		.amdhsa_ieee_mode 1
		.amdhsa_fp16_overflow 0
		.amdhsa_tg_split 0
		.amdhsa_exception_fp_ieee_invalid_op 0
		.amdhsa_exception_fp_denorm_src 0
		.amdhsa_exception_fp_ieee_div_zero 0
		.amdhsa_exception_fp_ieee_overflow 0
		.amdhsa_exception_fp_ieee_underflow 0
		.amdhsa_exception_fp_ieee_inexact 0
		.amdhsa_exception_int_div_zero 0
	.end_amdhsa_kernel
	.section	.text._Z20kDequantizeBlockwiseIfLi512ELi64ELi8ELi1EEvPfPhS0_PT_ii,"axG",@progbits,_Z20kDequantizeBlockwiseIfLi512ELi64ELi8ELi1EEvPfPhS0_PT_ii,comdat
.Lfunc_end156:
	.size	_Z20kDequantizeBlockwiseIfLi512ELi64ELi8ELi1EEvPfPhS0_PT_ii, .Lfunc_end156-_Z20kDequantizeBlockwiseIfLi512ELi64ELi8ELi1EEvPfPhS0_PT_ii
                                        ; -- End function
	.section	.AMDGPU.csdata,"",@progbits
; Kernel info:
; codeLenInByte = 2896
; NumSgprs: 21
; NumVgprs: 77
; NumAgprs: 0
; TotalNumVgprs: 77
; ScratchSize: 0
; MemoryBound: 0
; FloatMode: 240
; IeeeMode: 1
; LDSByteSize: 4752 bytes/workgroup (compile time only)
; SGPRBlocks: 2
; VGPRBlocks: 9
; NumSGPRsForWavesPerEU: 21
; NumVGPRsForWavesPerEU: 77
; AccumOffset: 80
; Occupancy: 6
; WaveLimiterHint : 0
; COMPUTE_PGM_RSRC2:SCRATCH_EN: 0
; COMPUTE_PGM_RSRC2:USER_SGPR: 2
; COMPUTE_PGM_RSRC2:TRAP_HANDLER: 0
; COMPUTE_PGM_RSRC2:TGID_X_EN: 1
; COMPUTE_PGM_RSRC2:TGID_Y_EN: 0
; COMPUTE_PGM_RSRC2:TGID_Z_EN: 0
; COMPUTE_PGM_RSRC2:TIDIG_COMP_CNT: 0
; COMPUTE_PGM_RSRC3_GFX90A:ACCUM_OFFSET: 19
; COMPUTE_PGM_RSRC3_GFX90A:TG_SPLIT: 0
	.section	.text._Z20kDequantizeBlockwiseIfLi512ELi64ELi8ELi0EEvPfPhS0_PT_ii,"axG",@progbits,_Z20kDequantizeBlockwiseIfLi512ELi64ELi8ELi0EEvPfPhS0_PT_ii,comdat
